;; amdgpu-corpus repo=ROCm/rocFFT kind=compiled arch=gfx90a opt=O3
	.text
	.amdgcn_target "amdgcn-amd-amdhsa--gfx90a"
	.amdhsa_code_object_version 6
	.protected	bluestein_single_back_len972_dim1_dp_op_CI_CI ; -- Begin function bluestein_single_back_len972_dim1_dp_op_CI_CI
	.globl	bluestein_single_back_len972_dim1_dp_op_CI_CI
	.p2align	8
	.type	bluestein_single_back_len972_dim1_dp_op_CI_CI,@function
bluestein_single_back_len972_dim1_dp_op_CI_CI: ; @bluestein_single_back_len972_dim1_dp_op_CI_CI
; %bb.0:
	s_load_dwordx4 s[16:19], s[4:5], 0x28
	v_mul_u32_u24_e32 v1, 0x195, v0
	v_add_u32_sdwa v96, s6, v1 dst_sel:DWORD dst_unused:UNUSED_PAD src0_sel:DWORD src1_sel:WORD_1
	v_mov_b32_e32 v97, 0
	s_waitcnt lgkmcnt(0)
	v_cmp_gt_u64_e32 vcc, s[16:17], v[96:97]
	s_and_saveexec_b64 s[0:1], vcc
	s_cbranch_execz .LBB0_2
; %bb.1:
	s_load_dwordx4 s[0:3], s[4:5], 0x18
	s_load_dwordx4 s[8:11], s[4:5], 0x0
	v_mov_b32_e32 v97, 0x1440
	v_mov_b32_e32 v103, 0xffffe1a0
	s_load_dwordx2 s[4:5], s[4:5], 0x38
	s_waitcnt lgkmcnt(0)
	v_pk_mov_b32 v[60:61], s[10:11], s[10:11] op_sel:[0,1]
	s_load_dwordx4 s[12:15], s[0:1], 0x0
	s_movk_i32 s0, 0xa2
	v_mul_lo_u16_sdwa v1, v1, s0 dst_sel:DWORD dst_unused:UNUSED_PAD src0_sel:WORD_1 src1_sel:DWORD
	v_sub_u16_e32 v102, v0, v1
	v_lshlrev_b32_e32 v101, 4, v102
	s_waitcnt lgkmcnt(0)
	v_mad_u64_u32 v[0:1], s[6:7], s14, v96, 0
	v_mov_b32_e32 v4, v1
	v_mad_u64_u32 v[2:3], s[6:7], s12, v102, 0
	v_mad_u64_u32 v[4:5], s[6:7], s15, v96, v[4:5]
	v_mov_b32_e32 v1, v4
	v_mov_b32_e32 v4, v3
	v_mad_u64_u32 v[4:5], s[6:7], s13, v102, v[4:5]
	v_lshlrev_b64 v[0:1], 4, v[0:1]
	v_mov_b32_e32 v3, v4
	v_mov_b32_e32 v4, s19
	v_add_co_u32_e32 v5, vcc, s18, v0
	v_addc_co_u32_e32 v4, vcc, v4, v1, vcc
	v_lshlrev_b64 v[0:1], 4, v[2:3]
	v_add_co_u32_e32 v0, vcc, v5, v0
	v_addc_co_u32_e32 v1, vcc, v4, v1, vcc
	v_mov_b32_e32 v2, s9
	v_add_co_u32_e32 v100, vcc, s8, v101
	v_mad_u64_u32 v[8:9], s[6:7], s12, v97, v[0:1]
	s_mul_i32 s1, s13, 0x1440
	v_addc_co_u32_e32 v104, vcc, 0, v2, vcc
	v_add_u32_e32 v9, s1, v9
	s_movk_i32 s14, 0x1000
	v_add_co_u32_e32 v20, vcc, s14, v100
	v_mad_u64_u32 v[12:13], s[6:7], s12, v97, v[8:9]
	v_addc_co_u32_e32 v21, vcc, 0, v104, vcc
	v_add_u32_e32 v13, s1, v13
	s_movk_i32 s6, 0x2000
	global_load_dwordx4 v[24:27], v[0:1], off
	global_load_dwordx4 v[4:7], v101, s[8:9]
	v_mov_b32_e32 v89, s11
	global_load_dwordx4 v[0:3], v[20:21], off offset:1088
	global_load_dwordx4 v[28:31], v[8:9], off
	global_load_dwordx4 v[32:35], v[12:13], off
	v_add_co_u32_e32 v8, vcc, s6, v100
	v_mad_u64_u32 v[22:23], s[6:7], s12, v103, v[12:13]
	s_mul_i32 s6, s13, 0xffffe1a0
	s_sub_i32 s6, s6, s12
	v_addc_co_u32_e32 v9, vcc, 0, v104, vcc
	v_add_u32_e32 v23, s6, v23
	global_load_dwordx4 v[8:11], v[8:9], off offset:2176
	v_mad_u64_u32 v[44:45], s[6:7], s12, v97, v[22:23]
	v_add_u32_e32 v45, s1, v45
	global_load_dwordx4 v[12:15], v101, s[8:9] offset:2592
	v_mad_u64_u32 v[48:49], s[6:7], s12, v97, v[44:45]
	v_add_u32_e32 v49, s1, v49
	s_movk_i32 s1, 0x3000
	global_load_dwordx4 v[36:39], v[22:23], off
	global_load_dwordx4 v[40:43], v[44:45], off
	global_load_dwordx4 v[16:19], v[20:21], off offset:3680
	v_add_co_u32_e32 v98, vcc, s1, v100
	v_addc_co_u32_e32 v99, vcc, 0, v104, vcc
	global_load_dwordx4 v[20:23], v[98:99], off offset:672
	global_load_dwordx4 v[44:47], v[48:49], off
	v_add_co_u32_e32 v88, vcc, s0, v102
	s_load_dwordx4 s[0:3], s[2:3], 0x0
	s_mov_b32 s6, 0xe8584caa
	s_mov_b32 s7, 0x3febb67a
	;; [unrolled: 1-line block ×4, first 2 shown]
	s_movk_i32 s12, 0xab
	s_mov_b32 s13, 0xe38f
	s_waitcnt vmcnt(10)
	v_mul_f64 v[48:49], v[26:27], v[6:7]
	v_mul_f64 v[50:51], v[24:25], v[6:7]
	v_fmac_f64_e32 v[48:49], v[24:25], v[4:5]
	v_fma_f64 v[50:51], v[26:27], v[4:5], -v[50:51]
	s_waitcnt vmcnt(8)
	v_mul_f64 v[24:25], v[30:31], v[2:3]
	v_mul_f64 v[26:27], v[28:29], v[2:3]
	v_fmac_f64_e32 v[24:25], v[28:29], v[0:1]
	v_fma_f64 v[26:27], v[30:31], v[0:1], -v[26:27]
	ds_write_b128 v101, v[24:27] offset:5184
	ds_write_b128 v101, v[48:51]
	s_waitcnt vmcnt(6)
	v_mul_f64 v[24:25], v[34:35], v[10:11]
	v_mul_f64 v[26:27], v[32:33], v[10:11]
	v_fmac_f64_e32 v[24:25], v[32:33], v[8:9]
	v_fma_f64 v[26:27], v[34:35], v[8:9], -v[26:27]
	ds_write_b128 v101, v[24:27] offset:10368
	s_waitcnt vmcnt(4)
	v_mul_f64 v[24:25], v[38:39], v[14:15]
	v_mul_f64 v[26:27], v[36:37], v[14:15]
	v_fmac_f64_e32 v[24:25], v[36:37], v[12:13]
	v_fma_f64 v[26:27], v[38:39], v[12:13], -v[26:27]
	ds_write_b128 v101, v[24:27] offset:2592
	;; [unrolled: 6-line block ×4, first 2 shown]
	s_waitcnt lgkmcnt(0)
	s_barrier
	ds_read_b128 v[24:27], v101 offset:5184
	ds_read_b128 v[28:31], v101
	ds_read_b128 v[32:35], v101 offset:10368
	ds_read_b128 v[36:39], v101 offset:2592
	;; [unrolled: 1-line block ×4, first 2 shown]
	s_waitcnt lgkmcnt(4)
	v_add_f64 v[48:49], v[28:29], v[24:25]
	s_waitcnt lgkmcnt(3)
	v_add_f64 v[50:51], v[24:25], v[32:33]
	v_fmac_f64_e32 v[28:29], -0.5, v[50:51]
	v_add_f64 v[50:51], v[26:27], -v[34:35]
	v_fma_f64 v[52:53], s[6:7], v[50:51], v[28:29]
	v_fmac_f64_e32 v[28:29], s[8:9], v[50:51]
	v_add_f64 v[50:51], v[30:31], v[26:27]
	v_add_f64 v[26:27], v[26:27], v[34:35]
	v_fmac_f64_e32 v[30:31], -0.5, v[26:27]
	v_add_f64 v[24:25], v[24:25], -v[32:33]
	s_waitcnt lgkmcnt(0)
	v_add_f64 v[26:27], v[40:41], v[44:45]
	v_add_f64 v[50:51], v[50:51], v[34:35]
	v_fma_f64 v[54:55], s[8:9], v[24:25], v[30:31]
	v_fmac_f64_e32 v[30:31], s[6:7], v[24:25]
	v_add_f64 v[24:25], v[36:37], v[40:41]
	v_fmac_f64_e32 v[36:37], -0.5, v[26:27]
	v_add_f64 v[26:27], v[42:43], -v[46:47]
	v_add_f64 v[34:35], v[42:43], v[46:47]
	v_add_f64 v[48:49], v[48:49], v[32:33]
	v_fma_f64 v[32:33], s[6:7], v[26:27], v[36:37]
	v_fmac_f64_e32 v[36:37], s[8:9], v[26:27]
	v_add_f64 v[26:27], v[38:39], v[42:43]
	v_fmac_f64_e32 v[38:39], -0.5, v[34:35]
	v_add_f64 v[40:41], v[40:41], -v[44:45]
	v_fma_f64 v[34:35], s[8:9], v[40:41], v[38:39]
	v_fmac_f64_e32 v[38:39], s[6:7], v[40:41]
	v_mul_lo_u16_e32 v40, 3, v102
	v_lshlrev_b32_e32 v105, 4, v40
	s_barrier
	ds_write_b128 v105, v[48:51]
	ds_write_b128 v105, v[52:55] offset:16
	ds_write_b128 v105, v[28:31] offset:32
	v_mul_u32_u24_e32 v28, 3, v88
	v_add_f64 v[24:25], v[24:25], v[44:45]
	v_add_f64 v[26:27], v[26:27], v[46:47]
	v_lshlrev_b32_e32 v106, 4, v28
	ds_write_b128 v106, v[24:27]
	ds_write_b128 v106, v[32:35] offset:16
	ds_write_b128 v106, v[36:39] offset:32
	v_mul_lo_u16_sdwa v24, v102, s12 dst_sel:DWORD dst_unused:UNUSED_PAD src0_sel:BYTE_0 src1_sel:DWORD
	v_lshrrev_b16_e32 v86, 9, v24
	v_mul_lo_u16_e32 v24, 3, v86
	v_sub_u16_e32 v24, v102, v24
	v_and_b32_e32 v87, 0xff, v24
	s_movk_i32 s12, 0x50
	v_mad_u64_u32 v[44:45], s[16:17], v87, s12, v[60:61]
	s_waitcnt lgkmcnt(0)
	s_barrier
	global_load_dwordx4 v[36:39], v[44:45], off
	global_load_dwordx4 v[32:35], v[44:45], off offset:16
	global_load_dwordx4 v[28:31], v[44:45], off offset:32
	;; [unrolled: 1-line block ×4, first 2 shown]
	ds_read_b128 v[44:47], v101
	ds_read_b128 v[48:51], v101 offset:2592
	ds_read_b128 v[52:55], v101 offset:5184
	;; [unrolled: 1-line block ×5, first 2 shown]
	s_waitcnt lgkmcnt(0)
	s_barrier
	s_waitcnt vmcnt(4)
	v_mul_f64 v[72:73], v[48:49], v[38:39]
	v_mul_f64 v[70:71], v[50:51], v[38:39]
	s_waitcnt vmcnt(3)
	v_mul_f64 v[74:75], v[54:55], v[34:35]
	v_fmac_f64_e32 v[72:73], v[50:51], v[36:37]
	v_mul_f64 v[50:51], v[52:53], v[34:35]
	v_fma_f64 v[70:71], v[48:49], v[36:37], -v[70:71]
	v_fma_f64 v[48:49], v[52:53], v[32:33], -v[74:75]
	v_fmac_f64_e32 v[50:51], v[54:55], v[32:33]
	s_waitcnt vmcnt(2)
	v_mul_f64 v[52:53], v[58:59], v[30:31]
	v_mul_f64 v[54:55], v[56:57], v[30:31]
	v_fma_f64 v[52:53], v[56:57], v[28:29], -v[52:53]
	v_fmac_f64_e32 v[54:55], v[58:59], v[28:29]
	s_waitcnt vmcnt(1)
	v_mul_f64 v[56:57], v[64:65], v[26:27]
	v_mul_f64 v[58:59], v[62:63], v[26:27]
	v_fma_f64 v[56:57], v[62:63], v[24:25], -v[56:57]
	v_fmac_f64_e32 v[58:59], v[64:65], v[24:25]
	s_waitcnt vmcnt(0)
	v_mul_f64 v[64:65], v[66:67], v[42:43]
	v_mul_f64 v[62:63], v[68:69], v[42:43]
	v_fmac_f64_e32 v[64:65], v[68:69], v[40:41]
	v_add_f64 v[68:69], v[48:49], v[56:57]
	v_fma_f64 v[62:63], v[66:67], v[40:41], -v[62:63]
	v_add_f64 v[66:67], v[44:45], v[48:49]
	v_fmac_f64_e32 v[44:45], -0.5, v[68:69]
	v_add_f64 v[68:69], v[50:51], -v[58:59]
	v_fma_f64 v[74:75], s[6:7], v[68:69], v[44:45]
	v_fmac_f64_e32 v[44:45], s[8:9], v[68:69]
	v_add_f64 v[68:69], v[46:47], v[50:51]
	v_add_f64 v[50:51], v[50:51], v[58:59]
	v_fmac_f64_e32 v[46:47], -0.5, v[50:51]
	v_add_f64 v[48:49], v[48:49], -v[56:57]
	v_fma_f64 v[76:77], s[8:9], v[48:49], v[46:47]
	v_fmac_f64_e32 v[46:47], s[6:7], v[48:49]
	v_add_f64 v[48:49], v[70:71], v[52:53]
	v_add_f64 v[78:79], v[48:49], v[62:63]
	v_add_f64 v[48:49], v[52:53], v[62:63]
	v_fmac_f64_e32 v[70:71], -0.5, v[48:49]
	v_add_f64 v[48:49], v[54:55], -v[64:65]
	v_add_f64 v[68:69], v[68:69], v[58:59]
	v_fma_f64 v[58:59], s[6:7], v[48:49], v[70:71]
	v_fmac_f64_e32 v[70:71], s[8:9], v[48:49]
	v_add_f64 v[48:49], v[72:73], v[54:55]
	v_add_f64 v[80:81], v[48:49], v[64:65]
	;; [unrolled: 1-line block ×3, first 2 shown]
	v_fmac_f64_e32 v[72:73], -0.5, v[48:49]
	v_add_f64 v[48:49], v[52:53], -v[62:63]
	v_fma_f64 v[54:55], s[8:9], v[48:49], v[72:73]
	v_fmac_f64_e32 v[72:73], s[6:7], v[48:49]
	v_mul_f64 v[82:83], v[70:71], -0.5
	v_fmac_f64_e32 v[82:83], s[6:7], v[72:73]
	v_mul_f64 v[72:73], v[72:73], -0.5
	v_add_f64 v[66:67], v[66:67], v[56:57]
	v_mul_f64 v[64:65], v[54:55], s[6:7]
	v_mul_f64 v[84:85], v[58:59], s[8:9]
	v_fmac_f64_e32 v[72:73], s[8:9], v[70:71]
	v_mul_u32_u24_e32 v70, 18, v86
	v_add_f64 v[48:49], v[66:67], v[78:79]
	v_fmac_f64_e32 v[64:65], 0.5, v[58:59]
	v_add_f64 v[56:57], v[44:45], v[82:83]
	v_add_f64 v[50:51], v[68:69], v[80:81]
	v_fmac_f64_e32 v[84:85], 0.5, v[54:55]
	v_add_f64 v[44:45], v[44:45], -v[82:83]
	v_add_lshl_u32 v107, v70, v87, 4
	v_add_f64 v[52:53], v[74:75], v[64:65]
	v_add_f64 v[54:55], v[76:77], v[84:85]
	;; [unrolled: 1-line block ×3, first 2 shown]
	v_add_f64 v[62:63], v[66:67], -v[78:79]
	v_add_f64 v[66:67], v[74:75], -v[64:65]
	;; [unrolled: 1-line block ×5, first 2 shown]
	ds_write_b128 v107, v[48:51]
	ds_write_b128 v107, v[52:55] offset:48
	ds_write_b128 v107, v[56:59] offset:96
	ds_write_b128 v107, v[62:65] offset:144
	ds_write_b128 v107, v[66:69] offset:192
	ds_write_b128 v107, v[44:47] offset:240
	v_mov_b32_e32 v44, 57
	v_mul_lo_u16_sdwa v44, v102, v44 dst_sel:DWORD dst_unused:UNUSED_PAD src0_sel:BYTE_0 src1_sel:DWORD
	v_lshrrev_b16_e32 v114, 10, v44
	v_mul_lo_u16_e32 v44, 18, v114
	v_sub_u16_e32 v44, v102, v44
	v_and_b32_e32 v115, 0xff, v44
	v_lshlrev_b32_e32 v52, 5, v115
	s_waitcnt lgkmcnt(0)
	s_barrier
	global_load_dwordx4 v[44:47], v52, s[10:11] offset:256
	global_load_dwordx4 v[48:51], v52, s[10:11] offset:240
	v_mul_u32_u24_sdwa v52, v88, s13 dst_sel:DWORD dst_unused:UNUSED_PAD src0_sel:WORD_0 src1_sel:DWORD
	v_lshrrev_b32_e32 v116, 20, v52
	v_mul_lo_u16_e32 v52, 18, v116
	v_sub_u16_e32 v117, v88, v52
	v_lshlrev_b16_e32 v52, 5, v117
	v_add_co_u32_e32 v62, vcc, s10, v52
	v_addc_co_u32_e32 v63, vcc, 0, v89, vcc
	global_load_dwordx4 v[56:59], v[62:63], off offset:240
	global_load_dwordx4 v[52:55], v[62:63], off offset:256
	ds_read_b128 v[62:65], v101 offset:5184
	ds_read_b128 v[66:69], v101
	ds_read_b128 v[70:73], v101 offset:2592
	ds_read_b128 v[74:77], v101 offset:7776
	;; [unrolled: 1-line block ×4, first 2 shown]
	s_waitcnt lgkmcnt(0)
	s_barrier
	s_movk_i32 s11, 0x1410
	v_lshlrev_b32_e32 v88, 5, v88
	s_waitcnt vmcnt(2)
	v_mul_f64 v[86:87], v[64:65], v[50:51]
	v_fma_f64 v[86:87], v[62:63], v[48:49], -v[86:87]
	v_mul_f64 v[90:91], v[62:63], v[50:51]
	v_mul_f64 v[62:63], v[80:81], v[46:47]
	v_fma_f64 v[92:93], v[78:79], v[44:45], -v[62:63]
	v_mul_f64 v[78:79], v[78:79], v[46:47]
	v_fmac_f64_e32 v[90:91], v[64:65], v[48:49]
	v_fmac_f64_e32 v[78:79], v[80:81], v[44:45]
	v_add_f64 v[64:65], v[86:87], v[92:93]
	s_waitcnt vmcnt(1)
	v_mul_f64 v[62:63], v[76:77], v[58:59]
	v_fma_f64 v[94:95], v[74:75], v[56:57], -v[62:63]
	s_waitcnt vmcnt(0)
	v_mul_f64 v[62:63], v[84:85], v[54:55]
	v_mul_f64 v[108:109], v[74:75], v[58:59]
	v_fma_f64 v[110:111], v[82:83], v[52:53], -v[62:63]
	v_add_f64 v[62:63], v[66:67], v[86:87]
	v_fmac_f64_e32 v[66:67], -0.5, v[64:65]
	v_add_f64 v[64:65], v[90:91], -v[78:79]
	v_fmac_f64_e32 v[108:109], v[76:77], v[56:57]
	v_mul_f64 v[112:113], v[82:83], v[54:55]
	v_fma_f64 v[74:75], s[6:7], v[64:65], v[66:67]
	v_fmac_f64_e32 v[66:67], s[8:9], v[64:65]
	v_add_f64 v[64:65], v[68:69], v[90:91]
	v_add_f64 v[76:77], v[90:91], v[78:79]
	v_fmac_f64_e32 v[112:113], v[84:85], v[52:53]
	v_add_f64 v[64:65], v[64:65], v[78:79]
	v_fmac_f64_e32 v[68:69], -0.5, v[76:77]
	v_add_f64 v[78:79], v[86:87], -v[92:93]
	v_add_f64 v[80:81], v[94:95], v[110:111]
	v_fma_f64 v[76:77], s[8:9], v[78:79], v[68:69]
	v_fmac_f64_e32 v[68:69], s[6:7], v[78:79]
	v_add_f64 v[78:79], v[70:71], v[94:95]
	v_fmac_f64_e32 v[70:71], -0.5, v[80:81]
	v_add_f64 v[80:81], v[108:109], -v[112:113]
	v_add_f64 v[84:85], v[108:109], v[112:113]
	v_fma_f64 v[82:83], s[6:7], v[80:81], v[70:71]
	v_fmac_f64_e32 v[70:71], s[8:9], v[80:81]
	v_add_f64 v[80:81], v[72:73], v[108:109]
	v_fmac_f64_e32 v[72:73], -0.5, v[84:85]
	v_add_f64 v[86:87], v[94:95], -v[110:111]
	v_fma_f64 v[84:85], s[8:9], v[86:87], v[72:73]
	v_fmac_f64_e32 v[72:73], s[6:7], v[86:87]
	v_mul_u32_u24_e32 v86, 54, v114
	v_add_f64 v[62:63], v[62:63], v[92:93]
	v_add_lshl_u32 v108, v86, v115, 4
	ds_write_b128 v108, v[62:65]
	ds_write_b128 v108, v[74:77] offset:288
	ds_write_b128 v108, v[66:69] offset:576
	v_mad_legacy_u16 v62, v116, 54, v117
	v_lshlrev_b32_e32 v109, 4, v62
	v_mov_b32_e32 v62, 19
	v_mul_lo_u16_sdwa v62, v102, v62 dst_sel:DWORD dst_unused:UNUSED_PAD src0_sel:BYTE_0 src1_sel:DWORD
	v_lshrrev_b16_e32 v138, 10, v62
	v_mul_lo_u16_e32 v62, 54, v138
	v_sub_u16_e32 v62, v102, v62
	v_add_f64 v[78:79], v[78:79], v[110:111]
	v_add_f64 v[80:81], v[80:81], v[112:113]
	v_and_b32_e32 v139, 0xff, v62
	ds_write_b128 v109, v[78:81]
	ds_write_b128 v109, v[82:85] offset:288
	ds_write_b128 v109, v[70:73] offset:576
	v_mad_u64_u32 v[80:81], s[12:13], v139, s12, v[60:61]
	s_waitcnt lgkmcnt(0)
	s_barrier
	global_load_dwordx4 v[72:75], v[80:81], off offset:816
	global_load_dwordx4 v[68:71], v[80:81], off offset:832
	;; [unrolled: 1-line block ×5, first 2 shown]
	ds_read_b128 v[80:83], v101
	ds_read_b128 v[84:87], v101 offset:2592
	ds_read_b128 v[90:93], v101 offset:5184
	;; [unrolled: 1-line block ×5, first 2 shown]
	s_waitcnt lgkmcnt(0)
	s_barrier
	s_waitcnt vmcnt(4)
	v_mul_f64 v[94:95], v[86:87], v[74:75]
	v_mul_f64 v[122:123], v[84:85], v[74:75]
	v_fma_f64 v[94:95], v[84:85], v[72:73], -v[94:95]
	v_fmac_f64_e32 v[122:123], v[86:87], v[72:73]
	s_waitcnt vmcnt(3)
	v_mul_f64 v[84:85], v[92:93], v[70:71]
	v_mul_f64 v[86:87], v[90:91], v[70:71]
	v_fma_f64 v[84:85], v[90:91], v[68:69], -v[84:85]
	v_fmac_f64_e32 v[86:87], v[92:93], v[68:69]
	;; [unrolled: 5-line block ×4, first 2 shown]
	s_waitcnt vmcnt(0)
	v_mul_f64 v[116:117], v[118:119], v[78:79]
	v_mul_f64 v[114:115], v[120:121], v[78:79]
	v_fmac_f64_e32 v[116:117], v[120:121], v[76:77]
	v_add_f64 v[120:121], v[84:85], v[110:111]
	v_fma_f64 v[114:115], v[118:119], v[76:77], -v[114:115]
	v_add_f64 v[118:119], v[80:81], v[84:85]
	v_fmac_f64_e32 v[80:81], -0.5, v[120:121]
	v_add_f64 v[120:121], v[86:87], -v[112:113]
	v_fma_f64 v[124:125], s[6:7], v[120:121], v[80:81]
	v_fmac_f64_e32 v[80:81], s[8:9], v[120:121]
	v_add_f64 v[120:121], v[82:83], v[86:87]
	v_add_f64 v[86:87], v[86:87], v[112:113]
	v_fmac_f64_e32 v[82:83], -0.5, v[86:87]
	v_add_f64 v[84:85], v[84:85], -v[110:111]
	v_add_f64 v[118:119], v[118:119], v[110:111]
	v_fma_f64 v[110:111], s[8:9], v[84:85], v[82:83]
	v_fmac_f64_e32 v[82:83], s[6:7], v[84:85]
	v_add_f64 v[84:85], v[94:95], v[90:91]
	v_add_f64 v[126:127], v[120:121], v[112:113]
	;; [unrolled: 1-line block ×4, first 2 shown]
	v_fmac_f64_e32 v[94:95], -0.5, v[84:85]
	v_add_f64 v[84:85], v[92:93], -v[116:117]
	v_fma_f64 v[128:129], s[6:7], v[84:85], v[94:95]
	v_fmac_f64_e32 v[94:95], s[8:9], v[84:85]
	v_add_f64 v[84:85], v[122:123], v[92:93]
	v_add_f64 v[130:131], v[84:85], v[116:117]
	;; [unrolled: 1-line block ×3, first 2 shown]
	v_fmac_f64_e32 v[122:123], -0.5, v[84:85]
	v_add_f64 v[84:85], v[90:91], -v[114:115]
	v_fma_f64 v[92:93], s[8:9], v[84:85], v[122:123]
	v_fmac_f64_e32 v[122:123], s[6:7], v[84:85]
	v_mul_f64 v[132:133], v[92:93], s[6:7]
	v_fmac_f64_e32 v[132:133], 0.5, v[128:129]
	v_mul_f64 v[134:135], v[94:95], -0.5
	v_mul_f64 v[128:129], v[128:129], s[8:9]
	v_mul_f64 v[136:137], v[122:123], -0.5
	v_fmac_f64_e32 v[134:135], s[6:7], v[122:123]
	v_fmac_f64_e32 v[128:129], 0.5, v[92:93]
	v_fmac_f64_e32 v[136:137], s[8:9], v[94:95]
	v_mul_u32_u24_e32 v94, 0x144, v138
	v_add_f64 v[84:85], v[118:119], v[120:121]
	v_add_f64 v[112:113], v[80:81], v[134:135]
	;; [unrolled: 1-line block ×4, first 2 shown]
	v_add_f64 v[80:81], v[80:81], -v[134:135]
	v_add_f64 v[122:123], v[110:111], -v[128:129]
	v_add_lshl_u32 v110, v94, v139, 4
	v_add_f64 v[90:91], v[124:125], v[132:133]
	v_add_f64 v[114:115], v[82:83], v[136:137]
	v_add_f64 v[116:117], v[118:119], -v[120:121]
	v_add_f64 v[120:121], v[124:125], -v[132:133]
	;; [unrolled: 1-line block ×4, first 2 shown]
	ds_write_b128 v110, v[84:87]
	ds_write_b128 v110, v[90:93] offset:864
	ds_write_b128 v110, v[112:115] offset:1728
	;; [unrolled: 1-line block ×5, first 2 shown]
	v_lshlrev_b32_e32 v80, 5, v102
	v_add_co_u32_e32 v80, vcc, s10, v80
	v_addc_co_u32_e32 v81, vcc, 0, v89, vcc
	v_add_co_u32_e32 v84, vcc, s11, v80
	v_addc_co_u32_e32 v85, vcc, 0, v81, vcc
	;; [unrolled: 2-line block ×5, first 2 shown]
	s_waitcnt lgkmcnt(0)
	s_barrier
	global_load_dwordx4 v[80:83], v[80:81], off offset:1040
	s_nop 0
	global_load_dwordx4 v[84:87], v[84:85], off offset:16
	v_add_co_u32_e32 v92, vcc, s11, v92
	global_load_dwordx4 v[88:91], v[88:89], off offset:1040
	v_addc_co_u32_e32 v93, vcc, 0, v93, vcc
	global_load_dwordx4 v[92:95], v[92:93], off offset:16
	ds_read_b128 v[112:115], v101 offset:5184
	ds_read_b128 v[116:119], v101
	ds_read_b128 v[120:123], v101 offset:2592
	ds_read_b128 v[124:127], v101 offset:7776
	;; [unrolled: 1-line block ×4, first 2 shown]
	s_movk_i32 s10, 0x5000
	s_movk_i32 s11, 0x6000
	s_waitcnt vmcnt(3) lgkmcnt(5)
	v_mul_f64 v[136:137], v[114:115], v[82:83]
	v_fma_f64 v[136:137], v[112:113], v[80:81], -v[136:137]
	v_mul_f64 v[138:139], v[112:113], v[82:83]
	s_waitcnt vmcnt(2) lgkmcnt(1)
	v_mul_f64 v[112:113], v[130:131], v[86:87]
	v_fma_f64 v[140:141], v[128:129], v[84:85], -v[112:113]
	v_mul_f64 v[128:129], v[128:129], v[86:87]
	s_waitcnt vmcnt(1)
	v_mul_f64 v[112:113], v[126:127], v[90:91]
	v_fmac_f64_e32 v[138:139], v[114:115], v[80:81]
	v_fmac_f64_e32 v[128:129], v[130:131], v[84:85]
	v_fma_f64 v[142:143], v[124:125], v[88:89], -v[112:113]
	s_waitcnt vmcnt(0) lgkmcnt(0)
	v_mul_f64 v[112:113], v[134:135], v[94:95]
	v_add_f64 v[114:115], v[136:137], v[140:141]
	v_mul_f64 v[144:145], v[124:125], v[90:91]
	v_fma_f64 v[146:147], v[132:133], v[92:93], -v[112:113]
	v_add_f64 v[112:113], v[116:117], v[136:137]
	v_fmac_f64_e32 v[116:117], -0.5, v[114:115]
	v_add_f64 v[114:115], v[138:139], -v[128:129]
	v_fmac_f64_e32 v[144:145], v[126:127], v[88:89]
	v_mul_f64 v[148:149], v[132:133], v[94:95]
	v_fma_f64 v[124:125], s[6:7], v[114:115], v[116:117]
	v_fmac_f64_e32 v[116:117], s[8:9], v[114:115]
	v_add_f64 v[114:115], v[118:119], v[138:139]
	v_add_f64 v[126:127], v[138:139], v[128:129]
	v_fmac_f64_e32 v[148:149], v[134:135], v[92:93]
	v_add_f64 v[114:115], v[114:115], v[128:129]
	v_fmac_f64_e32 v[118:119], -0.5, v[126:127]
	v_add_f64 v[128:129], v[136:137], -v[140:141]
	v_add_f64 v[130:131], v[142:143], v[146:147]
	v_fma_f64 v[126:127], s[8:9], v[128:129], v[118:119]
	v_fmac_f64_e32 v[118:119], s[6:7], v[128:129]
	v_add_f64 v[128:129], v[120:121], v[142:143]
	v_fmac_f64_e32 v[120:121], -0.5, v[130:131]
	v_add_f64 v[130:131], v[144:145], -v[148:149]
	v_add_f64 v[134:135], v[144:145], v[148:149]
	v_add_f64 v[112:113], v[112:113], v[140:141]
	v_fma_f64 v[132:133], s[6:7], v[130:131], v[120:121]
	v_fmac_f64_e32 v[120:121], s[8:9], v[130:131]
	v_add_f64 v[130:131], v[122:123], v[144:145]
	v_fmac_f64_e32 v[122:123], -0.5, v[134:135]
	v_add_f64 v[136:137], v[142:143], -v[146:147]
	v_add_f64 v[128:129], v[128:129], v[146:147]
	v_add_f64 v[130:131], v[130:131], v[148:149]
	v_fma_f64 v[134:135], s[8:9], v[136:137], v[122:123]
	v_fmac_f64_e32 v[122:123], s[6:7], v[136:137]
	ds_write_b128 v101, v[112:115]
	ds_write_b128 v101, v[124:127] offset:5184
	ds_write_b128 v101, v[116:119] offset:10368
	;; [unrolled: 1-line block ×5, first 2 shown]
	s_waitcnt lgkmcnt(0)
	s_barrier
	global_load_dwordx4 v[112:115], v[98:99], off offset:3264
	v_add_co_u32_e32 v98, vcc, s10, v100
	v_addc_co_u32_e32 v99, vcc, 0, v104, vcc
	global_load_dwordx4 v[116:119], v[98:99], off offset:256
	v_add_co_u32_e32 v132, vcc, s11, v100
	v_addc_co_u32_e32 v133, vcc, 0, v104, vcc
	global_load_dwordx4 v[120:123], v[132:133], off offset:1344
	s_movk_i32 s10, 0x3cc0
	v_add_co_u32_e32 v124, vcc, s10, v100
	v_addc_co_u32_e32 v125, vcc, 0, v104, vcc
	global_load_dwordx4 v[124:127], v[124:125], off offset:2592
	s_nop 0
	global_load_dwordx4 v[128:131], v[98:99], off offset:2848
	s_nop 0
	global_load_dwordx4 v[132:135], v[132:133], off offset:3936
	ds_read_b128 v[136:139], v101
	ds_read_b128 v[140:143], v101 offset:2592
	ds_read_b128 v[148:151], v101 offset:5184
	v_mad_u64_u32 v[98:99], s[10:11], s2, v96, 0
	v_mov_b32_e32 v100, v99
	s_waitcnt vmcnt(5) lgkmcnt(2)
	v_mul_f64 v[144:145], v[138:139], v[114:115]
	v_mul_f64 v[146:147], v[136:137], v[114:115]
	v_fma_f64 v[144:145], v[136:137], v[112:113], -v[144:145]
	v_fmac_f64_e32 v[146:147], v[138:139], v[112:113]
	ds_read_b128 v[112:115], v101 offset:7776
	ds_write_b128 v101, v[144:147]
	ds_read_b128 v[144:147], v101 offset:10368
	s_waitcnt vmcnt(4) lgkmcnt(3)
	v_mul_f64 v[136:137], v[150:151], v[118:119]
	v_mul_f64 v[138:139], v[148:149], v[118:119]
	v_fma_f64 v[136:137], v[148:149], v[116:117], -v[136:137]
	v_fmac_f64_e32 v[138:139], v[150:151], v[116:117]
	ds_read_b128 v[116:119], v101 offset:12960
	ds_write_b128 v101, v[136:139] offset:5184
	s_waitcnt vmcnt(3) lgkmcnt(2)
	v_mul_f64 v[136:137], v[146:147], v[122:123]
	v_mul_f64 v[138:139], v[144:145], v[122:123]
	v_fma_f64 v[136:137], v[144:145], v[120:121], -v[136:137]
	v_fmac_f64_e32 v[138:139], v[146:147], v[120:121]
	s_waitcnt vmcnt(2)
	v_mul_f64 v[120:121], v[142:143], v[126:127]
	v_mul_f64 v[122:123], v[140:141], v[126:127]
	v_fma_f64 v[120:121], v[140:141], v[124:125], -v[120:121]
	v_fmac_f64_e32 v[122:123], v[142:143], v[124:125]
	ds_write_b128 v101, v[120:123] offset:2592
	s_waitcnt vmcnt(1)
	v_mul_f64 v[120:121], v[114:115], v[130:131]
	v_mul_f64 v[122:123], v[112:113], v[130:131]
	v_fma_f64 v[120:121], v[112:113], v[128:129], -v[120:121]
	v_fmac_f64_e32 v[122:123], v[114:115], v[128:129]
	s_waitcnt vmcnt(0) lgkmcnt(2)
	v_mul_f64 v[112:113], v[118:119], v[134:135]
	v_mul_f64 v[114:115], v[116:117], v[134:135]
	v_fma_f64 v[112:113], v[116:117], v[132:133], -v[112:113]
	v_fmac_f64_e32 v[114:115], v[118:119], v[132:133]
	ds_write_b128 v101, v[136:139] offset:10368
	ds_write_b128 v101, v[120:123] offset:7776
	;; [unrolled: 1-line block ×3, first 2 shown]
	s_waitcnt lgkmcnt(0)
	s_barrier
	ds_read_b128 v[112:115], v101 offset:5184
	ds_read_b128 v[116:119], v101
	ds_read_b128 v[120:123], v101 offset:10368
	ds_read_b128 v[124:127], v101 offset:2592
	;; [unrolled: 1-line block ×4, first 2 shown]
	s_waitcnt lgkmcnt(4)
	v_add_f64 v[136:137], v[116:117], v[112:113]
	s_waitcnt lgkmcnt(3)
	v_add_f64 v[138:139], v[112:113], v[120:121]
	v_fmac_f64_e32 v[116:117], -0.5, v[138:139]
	v_add_f64 v[138:139], v[114:115], -v[122:123]
	v_fma_f64 v[140:141], s[8:9], v[138:139], v[116:117]
	v_fmac_f64_e32 v[116:117], s[6:7], v[138:139]
	v_add_f64 v[138:139], v[118:119], v[114:115]
	v_add_f64 v[114:115], v[114:115], v[122:123]
	v_fmac_f64_e32 v[118:119], -0.5, v[114:115]
	v_add_f64 v[112:113], v[112:113], -v[120:121]
	s_waitcnt lgkmcnt(0)
	v_add_f64 v[114:115], v[128:129], v[132:133]
	v_add_f64 v[138:139], v[138:139], v[122:123]
	v_fma_f64 v[142:143], s[6:7], v[112:113], v[118:119]
	v_fmac_f64_e32 v[118:119], s[8:9], v[112:113]
	v_add_f64 v[112:113], v[124:125], v[128:129]
	v_fmac_f64_e32 v[124:125], -0.5, v[114:115]
	v_add_f64 v[114:115], v[130:131], -v[134:135]
	v_add_f64 v[122:123], v[130:131], v[134:135]
	v_add_f64 v[136:137], v[136:137], v[120:121]
	v_fma_f64 v[120:121], s[8:9], v[114:115], v[124:125]
	v_fmac_f64_e32 v[124:125], s[6:7], v[114:115]
	v_add_f64 v[114:115], v[126:127], v[130:131]
	v_fmac_f64_e32 v[126:127], -0.5, v[122:123]
	v_add_f64 v[128:129], v[128:129], -v[132:133]
	v_add_f64 v[112:113], v[112:113], v[132:133]
	v_add_f64 v[114:115], v[114:115], v[134:135]
	v_fma_f64 v[122:123], s[6:7], v[128:129], v[126:127]
	v_fmac_f64_e32 v[126:127], s[8:9], v[128:129]
	s_barrier
	ds_write_b128 v105, v[136:139]
	ds_write_b128 v105, v[140:143] offset:16
	ds_write_b128 v105, v[116:119] offset:32
	ds_write_b128 v106, v[112:115]
	ds_write_b128 v106, v[120:123] offset:16
	ds_write_b128 v106, v[124:127] offset:32
	s_waitcnt lgkmcnt(0)
	s_barrier
	ds_read_b128 v[112:115], v101
	ds_read_b128 v[116:119], v101 offset:2592
	ds_read_b128 v[120:123], v101 offset:5184
	;; [unrolled: 1-line block ×5, first 2 shown]
	s_waitcnt lgkmcnt(4)
	v_mul_f64 v[104:105], v[38:39], v[118:119]
	v_mul_f64 v[38:39], v[38:39], v[116:117]
	v_fmac_f64_e32 v[104:105], v[36:37], v[116:117]
	v_fma_f64 v[36:37], v[36:37], v[118:119], -v[38:39]
	s_waitcnt lgkmcnt(3)
	v_mul_f64 v[38:39], v[34:35], v[122:123]
	v_mul_f64 v[34:35], v[34:35], v[120:121]
	v_fmac_f64_e32 v[38:39], v[32:33], v[120:121]
	v_fma_f64 v[32:33], v[32:33], v[122:123], -v[34:35]
	;; [unrolled: 5-line block ×3, first 2 shown]
	s_waitcnt lgkmcnt(1)
	v_mul_f64 v[30:31], v[26:27], v[130:131]
	v_fmac_f64_e32 v[30:31], v[24:25], v[128:129]
	v_mul_f64 v[26:27], v[26:27], v[128:129]
	v_fma_f64 v[24:25], v[24:25], v[130:131], -v[26:27]
	s_waitcnt lgkmcnt(0)
	v_mul_f64 v[26:27], v[42:43], v[134:135]
	v_mul_f64 v[42:43], v[42:43], v[132:133]
	v_add_f64 v[116:117], v[38:39], v[30:31]
	v_fmac_f64_e32 v[26:27], v[40:41], v[132:133]
	v_fma_f64 v[40:41], v[40:41], v[134:135], -v[42:43]
	v_add_f64 v[42:43], v[112:113], v[38:39]
	v_fmac_f64_e32 v[112:113], -0.5, v[116:117]
	v_add_f64 v[116:117], v[32:33], -v[24:25]
	v_fma_f64 v[118:119], s[8:9], v[116:117], v[112:113]
	v_fmac_f64_e32 v[112:113], s[6:7], v[116:117]
	v_add_f64 v[116:117], v[114:115], v[32:33]
	v_add_f64 v[116:117], v[116:117], v[24:25]
	v_add_f64 v[24:25], v[32:33], v[24:25]
	v_fmac_f64_e32 v[114:115], -0.5, v[24:25]
	v_add_f64 v[24:25], v[38:39], -v[30:31]
	v_fma_f64 v[120:121], s[6:7], v[24:25], v[114:115]
	v_fmac_f64_e32 v[114:115], s[8:9], v[24:25]
	v_add_f64 v[24:25], v[104:105], v[34:35]
	v_add_f64 v[38:39], v[24:25], v[26:27]
	;; [unrolled: 1-line block ×3, first 2 shown]
	v_fmac_f64_e32 v[104:105], -0.5, v[24:25]
	v_add_f64 v[24:25], v[28:29], -v[40:41]
	v_add_f64 v[42:43], v[42:43], v[30:31]
	v_fma_f64 v[30:31], s[8:9], v[24:25], v[104:105]
	v_fmac_f64_e32 v[104:105], s[6:7], v[24:25]
	v_add_f64 v[24:25], v[36:37], v[28:29]
	v_add_f64 v[122:123], v[24:25], v[40:41]
	;; [unrolled: 1-line block ×3, first 2 shown]
	v_fmac_f64_e32 v[36:37], -0.5, v[24:25]
	v_add_f64 v[24:25], v[34:35], -v[26:27]
	v_fma_f64 v[34:35], s[6:7], v[24:25], v[36:37]
	v_fmac_f64_e32 v[36:37], s[8:9], v[24:25]
	v_mul_f64 v[40:41], v[34:35], s[8:9]
	v_mul_f64 v[124:125], v[36:37], s[8:9]
	v_mul_f64 v[126:127], v[34:35], 0.5
	v_mul_f64 v[128:129], v[36:37], -0.5
	v_fmac_f64_e32 v[40:41], 0.5, v[30:31]
	v_fmac_f64_e32 v[124:125], -0.5, v[104:105]
	v_fmac_f64_e32 v[126:127], s[6:7], v[30:31]
	v_fmac_f64_e32 v[128:129], s[6:7], v[104:105]
	v_add_f64 v[24:25], v[42:43], v[38:39]
	v_add_f64 v[28:29], v[118:119], v[40:41]
	;; [unrolled: 1-line block ×6, first 2 shown]
	v_add_f64 v[36:37], v[42:43], -v[38:39]
	v_add_f64 v[40:41], v[118:119], -v[40:41]
	v_add_f64 v[38:39], v[116:117], -v[122:123]
	v_add_f64 v[42:43], v[120:121], -v[126:127]
	v_add_f64 v[112:113], v[112:113], -v[124:125]
	v_add_f64 v[114:115], v[114:115], -v[128:129]
	s_barrier
	ds_write_b128 v107, v[24:27]
	ds_write_b128 v107, v[28:31] offset:48
	ds_write_b128 v107, v[32:35] offset:96
	;; [unrolled: 1-line block ×5, first 2 shown]
	s_waitcnt lgkmcnt(0)
	s_barrier
	ds_read_b128 v[24:27], v101 offset:5184
	ds_read_b128 v[28:31], v101
	ds_read_b128 v[32:35], v101 offset:2592
	ds_read_b128 v[36:39], v101 offset:7776
	;; [unrolled: 1-line block ×4, first 2 shown]
	s_waitcnt lgkmcnt(5)
	v_mul_f64 v[112:113], v[50:51], v[26:27]
	v_fmac_f64_e32 v[112:113], v[48:49], v[24:25]
	v_mul_f64 v[24:25], v[50:51], v[24:25]
	v_fma_f64 v[48:49], v[48:49], v[26:27], -v[24:25]
	s_waitcnt lgkmcnt(1)
	v_mul_f64 v[50:51], v[46:47], v[42:43]
	v_mul_f64 v[24:25], v[46:47], v[40:41]
	v_fmac_f64_e32 v[50:51], v[44:45], v[40:41]
	v_fma_f64 v[40:41], v[44:45], v[42:43], -v[24:25]
	v_mul_f64 v[46:47], v[58:59], v[38:39]
	v_mul_f64 v[24:25], v[58:59], v[36:37]
	v_fmac_f64_e32 v[46:47], v[56:57], v[36:37]
	v_fma_f64 v[56:57], v[56:57], v[38:39], -v[24:25]
	s_waitcnt lgkmcnt(0)
	v_mul_f64 v[58:59], v[54:55], v[106:107]
	v_mul_f64 v[24:25], v[54:55], v[104:105]
	v_add_f64 v[26:27], v[112:113], v[50:51]
	v_fmac_f64_e32 v[58:59], v[52:53], v[104:105]
	v_fma_f64 v[52:53], v[52:53], v[106:107], -v[24:25]
	v_add_f64 v[24:25], v[28:29], v[112:113]
	v_fmac_f64_e32 v[28:29], -0.5, v[26:27]
	v_add_f64 v[26:27], v[48:49], -v[40:41]
	v_fma_f64 v[36:37], s[8:9], v[26:27], v[28:29]
	v_fmac_f64_e32 v[28:29], s[6:7], v[26:27]
	v_add_f64 v[26:27], v[30:31], v[48:49]
	v_add_f64 v[38:39], v[48:49], v[40:41]
	;; [unrolled: 1-line block ×3, first 2 shown]
	v_fmac_f64_e32 v[30:31], -0.5, v[38:39]
	v_add_f64 v[40:41], v[112:113], -v[50:51]
	v_add_f64 v[42:43], v[46:47], v[58:59]
	v_fma_f64 v[38:39], s[6:7], v[40:41], v[30:31]
	v_fmac_f64_e32 v[30:31], s[8:9], v[40:41]
	v_add_f64 v[40:41], v[32:33], v[46:47]
	v_fmac_f64_e32 v[32:33], -0.5, v[42:43]
	v_add_f64 v[42:43], v[56:57], -v[52:53]
	v_add_f64 v[48:49], v[56:57], v[52:53]
	v_fma_f64 v[44:45], s[8:9], v[42:43], v[32:33]
	v_fmac_f64_e32 v[32:33], s[6:7], v[42:43]
	v_add_f64 v[42:43], v[34:35], v[56:57]
	v_fmac_f64_e32 v[34:35], -0.5, v[48:49]
	v_add_f64 v[48:49], v[46:47], -v[58:59]
	v_add_f64 v[24:25], v[24:25], v[50:51]
	v_add_f64 v[40:41], v[40:41], v[58:59]
	;; [unrolled: 1-line block ×3, first 2 shown]
	v_fma_f64 v[46:47], s[6:7], v[48:49], v[34:35]
	v_fmac_f64_e32 v[34:35], s[8:9], v[48:49]
	s_barrier
	ds_write_b128 v108, v[24:27]
	ds_write_b128 v108, v[36:39] offset:288
	ds_write_b128 v108, v[28:31] offset:576
	ds_write_b128 v109, v[40:43]
	ds_write_b128 v109, v[44:47] offset:288
	ds_write_b128 v109, v[32:35] offset:576
	s_waitcnt lgkmcnt(0)
	s_barrier
	ds_read_b128 v[24:27], v101
	ds_read_b128 v[28:31], v101 offset:2592
	ds_read_b128 v[32:35], v101 offset:5184
	;; [unrolled: 1-line block ×5, first 2 shown]
	s_waitcnt lgkmcnt(4)
	v_mul_f64 v[48:49], v[74:75], v[30:31]
	v_fmac_f64_e32 v[48:49], v[72:73], v[28:29]
	v_mul_f64 v[28:29], v[74:75], v[28:29]
	v_fma_f64 v[50:51], v[72:73], v[30:31], -v[28:29]
	s_waitcnt lgkmcnt(3)
	v_mul_f64 v[28:29], v[70:71], v[34:35]
	v_mul_f64 v[30:31], v[70:71], v[32:33]
	v_fmac_f64_e32 v[28:29], v[68:69], v[32:33]
	v_fma_f64 v[30:31], v[68:69], v[34:35], -v[30:31]
	s_waitcnt lgkmcnt(2)
	v_mul_f64 v[32:33], v[66:67], v[38:39]
	v_mul_f64 v[34:35], v[66:67], v[36:37]
	v_fmac_f64_e32 v[32:33], v[64:65], v[36:37]
	;; [unrolled: 5-line block ×3, first 2 shown]
	v_fma_f64 v[38:39], v[60:61], v[42:43], -v[38:39]
	s_waitcnt lgkmcnt(0)
	v_mul_f64 v[42:43], v[78:79], v[44:45]
	v_mul_f64 v[40:41], v[78:79], v[46:47]
	v_fma_f64 v[42:43], v[76:77], v[46:47], -v[42:43]
	v_add_f64 v[46:47], v[28:29], v[36:37]
	v_fmac_f64_e32 v[40:41], v[76:77], v[44:45]
	v_add_f64 v[44:45], v[24:25], v[28:29]
	v_fmac_f64_e32 v[24:25], -0.5, v[46:47]
	v_add_f64 v[46:47], v[30:31], -v[38:39]
	v_fma_f64 v[52:53], s[8:9], v[46:47], v[24:25]
	v_fmac_f64_e32 v[24:25], s[6:7], v[46:47]
	v_add_f64 v[46:47], v[26:27], v[30:31]
	v_add_f64 v[30:31], v[30:31], v[38:39]
	v_fmac_f64_e32 v[26:27], -0.5, v[30:31]
	v_add_f64 v[28:29], v[28:29], -v[36:37]
	v_fma_f64 v[54:55], s[6:7], v[28:29], v[26:27]
	v_fmac_f64_e32 v[26:27], s[8:9], v[28:29]
	v_add_f64 v[28:29], v[48:49], v[32:33]
	v_add_f64 v[56:57], v[28:29], v[40:41]
	;; [unrolled: 1-line block ×3, first 2 shown]
	v_fmac_f64_e32 v[48:49], -0.5, v[28:29]
	v_add_f64 v[28:29], v[34:35], -v[42:43]
	v_add_f64 v[46:47], v[46:47], v[38:39]
	v_fma_f64 v[38:39], s[8:9], v[28:29], v[48:49]
	v_fmac_f64_e32 v[48:49], s[6:7], v[28:29]
	v_add_f64 v[28:29], v[50:51], v[34:35]
	v_add_f64 v[58:59], v[28:29], v[42:43]
	v_add_f64 v[28:29], v[34:35], v[42:43]
	v_fmac_f64_e32 v[50:51], -0.5, v[28:29]
	v_add_f64 v[28:29], v[32:33], -v[40:41]
	v_fma_f64 v[34:35], s[6:7], v[28:29], v[50:51]
	v_fmac_f64_e32 v[50:51], s[8:9], v[28:29]
	v_mul_f64 v[42:43], v[34:35], s[8:9]
	v_mul_f64 v[60:61], v[50:51], s[8:9]
	v_mul_f64 v[62:63], v[34:35], 0.5
	v_mul_f64 v[50:51], v[50:51], -0.5
	v_add_f64 v[44:45], v[44:45], v[36:37]
	v_fmac_f64_e32 v[42:43], 0.5, v[38:39]
	v_fmac_f64_e32 v[60:61], -0.5, v[48:49]
	v_fmac_f64_e32 v[62:63], s[6:7], v[38:39]
	v_fmac_f64_e32 v[50:51], s[6:7], v[48:49]
	v_add_f64 v[28:29], v[44:45], v[56:57]
	v_add_f64 v[32:33], v[52:53], v[42:43]
	;; [unrolled: 1-line block ×6, first 2 shown]
	v_add_f64 v[40:41], v[44:45], -v[56:57]
	v_add_f64 v[44:45], v[52:53], -v[42:43]
	;; [unrolled: 1-line block ×6, first 2 shown]
	s_barrier
	ds_write_b128 v110, v[28:31]
	ds_write_b128 v110, v[32:35] offset:864
	ds_write_b128 v110, v[36:39] offset:1728
	;; [unrolled: 1-line block ×5, first 2 shown]
	s_waitcnt lgkmcnt(0)
	s_barrier
	ds_read_b128 v[24:27], v101 offset:5184
	ds_read_b128 v[28:31], v101
	ds_read_b128 v[32:35], v101 offset:2592
	ds_read_b128 v[36:39], v101 offset:7776
	ds_read_b128 v[40:43], v101 offset:10368
	ds_read_b128 v[44:47], v101 offset:12960
	s_waitcnt lgkmcnt(5)
	v_mul_f64 v[48:49], v[82:83], v[26:27]
	v_fmac_f64_e32 v[48:49], v[80:81], v[24:25]
	v_mul_f64 v[24:25], v[82:83], v[24:25]
	v_fma_f64 v[50:51], v[80:81], v[26:27], -v[24:25]
	s_waitcnt lgkmcnt(1)
	v_mul_f64 v[52:53], v[86:87], v[42:43]
	v_mul_f64 v[24:25], v[86:87], v[40:41]
	v_fmac_f64_e32 v[52:53], v[84:85], v[40:41]
	v_fma_f64 v[40:41], v[84:85], v[42:43], -v[24:25]
	v_mul_f64 v[24:25], v[90:91], v[36:37]
	v_fma_f64 v[56:57], v[88:89], v[38:39], -v[24:25]
	s_waitcnt lgkmcnt(0)
	v_mul_f64 v[24:25], v[94:95], v[44:45]
	v_add_f64 v[26:27], v[48:49], v[52:53]
	v_mul_f64 v[54:55], v[90:91], v[38:39]
	v_mul_f64 v[58:59], v[94:95], v[46:47]
	v_fma_f64 v[46:47], v[92:93], v[46:47], -v[24:25]
	v_add_f64 v[24:25], v[28:29], v[48:49]
	v_fmac_f64_e32 v[28:29], -0.5, v[26:27]
	v_add_f64 v[26:27], v[50:51], -v[40:41]
	v_fmac_f64_e32 v[54:55], v[88:89], v[36:37]
	v_fmac_f64_e32 v[58:59], v[92:93], v[44:45]
	v_fma_f64 v[36:37], s[8:9], v[26:27], v[28:29]
	v_fmac_f64_e32 v[28:29], s[6:7], v[26:27]
	v_add_f64 v[26:27], v[30:31], v[50:51]
	v_add_f64 v[38:39], v[50:51], v[40:41]
	;; [unrolled: 1-line block ×3, first 2 shown]
	v_fmac_f64_e32 v[30:31], -0.5, v[38:39]
	v_add_f64 v[40:41], v[48:49], -v[52:53]
	v_add_f64 v[42:43], v[54:55], v[58:59]
	v_fma_f64 v[38:39], s[6:7], v[40:41], v[30:31]
	v_fmac_f64_e32 v[30:31], s[8:9], v[40:41]
	v_add_f64 v[40:41], v[32:33], v[54:55]
	v_fmac_f64_e32 v[32:33], -0.5, v[42:43]
	v_add_f64 v[42:43], v[56:57], -v[46:47]
	v_fma_f64 v[44:45], s[8:9], v[42:43], v[32:33]
	v_fmac_f64_e32 v[32:33], s[6:7], v[42:43]
	v_add_f64 v[42:43], v[34:35], v[56:57]
	v_add_f64 v[42:43], v[42:43], v[46:47]
	;; [unrolled: 1-line block ×4, first 2 shown]
	v_fmac_f64_e32 v[34:35], -0.5, v[46:47]
	v_add_f64 v[48:49], v[54:55], -v[58:59]
	v_add_f64 v[40:41], v[40:41], v[58:59]
	v_fma_f64 v[46:47], s[6:7], v[48:49], v[34:35]
	v_fmac_f64_e32 v[34:35], s[8:9], v[48:49]
	ds_write_b128 v101, v[24:27]
	ds_write_b128 v101, v[36:39] offset:5184
	ds_write_b128 v101, v[28:31] offset:10368
	;; [unrolled: 1-line block ×5, first 2 shown]
	s_waitcnt lgkmcnt(0)
	s_barrier
	ds_read_b128 v[24:27], v101
	v_mad_u64_u32 v[28:29], s[2:3], s3, v96, v[100:101]
	v_mov_b32_e32 v99, v28
	ds_read_b128 v[28:31], v101 offset:2592
	s_waitcnt lgkmcnt(1)
	v_mul_f64 v[32:33], v[6:7], v[26:27]
	s_mov_b32 s2, 0xa88f4696
	v_mul_f64 v[6:7], v[6:7], v[24:25]
	v_fmac_f64_e32 v[32:33], v[4:5], v[24:25]
	s_mov_b32 s3, 0x3f50db20
	v_fma_f64 v[4:5], v[4:5], v[26:27], -v[6:7]
	v_mul_f64 v[34:35], v[4:5], s[2:3]
	v_mad_u64_u32 v[4:5], s[6:7], s0, v102, 0
	v_mov_b32_e32 v6, v5
	v_mad_u64_u32 v[6:7], s[6:7], s1, v102, v[6:7]
	v_mov_b32_e32 v5, v6
	v_lshlrev_b64 v[6:7], 4, v[98:99]
	v_mov_b32_e32 v24, s5
	v_add_co_u32_e32 v26, vcc, s4, v6
	v_addc_co_u32_e32 v27, vcc, v24, v7, vcc
	v_lshlrev_b64 v[24:25], 4, v[4:5]
	ds_read_b128 v[4:7], v101 offset:5184
	v_add_co_u32_e32 v36, vcc, v26, v24
	v_mul_f64 v[32:33], v[32:33], s[2:3]
	v_addc_co_u32_e32 v37, vcc, v27, v25, vcc
	ds_read_b128 v[24:27], v101 offset:7776
	global_store_dwordx4 v[36:37], v[32:35], off
	v_mad_u64_u32 v[36:37], s[4:5], s0, v97, v[36:37]
	s_waitcnt lgkmcnt(1)
	v_mul_f64 v[32:33], v[2:3], v[6:7]
	v_mul_f64 v[2:3], v[2:3], v[4:5]
	v_fmac_f64_e32 v[32:33], v[0:1], v[4:5]
	v_fma_f64 v[0:1], v[0:1], v[6:7], -v[2:3]
	v_mul_f64 v[34:35], v[0:1], s[2:3]
	ds_read_b128 v[0:3], v101 offset:10368
	ds_read_b128 v[4:7], v101 offset:12960
	s_mul_i32 s6, s1, 0x1440
	v_mul_f64 v[32:33], v[32:33], s[2:3]
	v_add_u32_e32 v37, s6, v37
	global_store_dwordx4 v[36:37], v[32:35], off
	s_mulk_i32 s1, 0xe1a0
	s_waitcnt lgkmcnt(1)
	v_mul_f64 v[32:33], v[10:11], v[2:3]
	v_fmac_f64_e32 v[32:33], v[8:9], v[0:1]
	v_mul_f64 v[0:1], v[10:11], v[0:1]
	v_fma_f64 v[0:1], v[8:9], v[2:3], -v[0:1]
	v_mad_u64_u32 v[8:9], s[4:5], s0, v97, v[36:37]
	v_mul_f64 v[32:33], v[32:33], s[2:3]
	v_mul_f64 v[34:35], v[0:1], s[2:3]
	v_add_u32_e32 v9, s6, v9
	v_mul_f64 v[0:1], v[14:15], v[30:31]
	v_mul_f64 v[2:3], v[14:15], v[28:29]
	global_store_dwordx4 v[8:9], v[32:35], off
	v_fmac_f64_e32 v[0:1], v[12:13], v[28:29]
	v_fma_f64 v[2:3], v[12:13], v[30:31], -v[2:3]
	v_mad_u64_u32 v[8:9], s[4:5], s0, v103, v[8:9]
	s_sub_i32 s1, s1, s0
	v_mul_f64 v[0:1], v[0:1], s[2:3]
	v_mul_f64 v[2:3], v[2:3], s[2:3]
	v_add_u32_e32 v9, s1, v9
	global_store_dwordx4 v[8:9], v[0:3], off
	v_mad_u64_u32 v[8:9], s[4:5], s0, v97, v[8:9]
	v_mul_f64 v[0:1], v[18:19], v[26:27]
	v_mul_f64 v[2:3], v[18:19], v[24:25]
	v_fmac_f64_e32 v[0:1], v[16:17], v[24:25]
	v_fma_f64 v[2:3], v[16:17], v[26:27], -v[2:3]
	v_mul_f64 v[0:1], v[0:1], s[2:3]
	v_mul_f64 v[2:3], v[2:3], s[2:3]
	v_add_u32_e32 v9, s6, v9
	global_store_dwordx4 v[8:9], v[0:3], off
	s_waitcnt lgkmcnt(0)
	v_mul_f64 v[0:1], v[22:23], v[6:7]
	v_mul_f64 v[2:3], v[22:23], v[4:5]
	v_fmac_f64_e32 v[0:1], v[20:21], v[4:5]
	v_fma_f64 v[2:3], v[20:21], v[6:7], -v[2:3]
	v_mad_u64_u32 v[4:5], s[0:1], s0, v97, v[8:9]
	v_mul_f64 v[0:1], v[0:1], s[2:3]
	v_mul_f64 v[2:3], v[2:3], s[2:3]
	v_add_u32_e32 v5, s6, v5
	global_store_dwordx4 v[4:5], v[0:3], off
.LBB0_2:
	s_endpgm
	.section	.rodata,"a",@progbits
	.p2align	6, 0x0
	.amdhsa_kernel bluestein_single_back_len972_dim1_dp_op_CI_CI
		.amdhsa_group_segment_fixed_size 15552
		.amdhsa_private_segment_fixed_size 0
		.amdhsa_kernarg_size 104
		.amdhsa_user_sgpr_count 6
		.amdhsa_user_sgpr_private_segment_buffer 1
		.amdhsa_user_sgpr_dispatch_ptr 0
		.amdhsa_user_sgpr_queue_ptr 0
		.amdhsa_user_sgpr_kernarg_segment_ptr 1
		.amdhsa_user_sgpr_dispatch_id 0
		.amdhsa_user_sgpr_flat_scratch_init 0
		.amdhsa_user_sgpr_kernarg_preload_length 0
		.amdhsa_user_sgpr_kernarg_preload_offset 0
		.amdhsa_user_sgpr_private_segment_size 0
		.amdhsa_uses_dynamic_stack 0
		.amdhsa_system_sgpr_private_segment_wavefront_offset 0
		.amdhsa_system_sgpr_workgroup_id_x 1
		.amdhsa_system_sgpr_workgroup_id_y 0
		.amdhsa_system_sgpr_workgroup_id_z 0
		.amdhsa_system_sgpr_workgroup_info 0
		.amdhsa_system_vgpr_workitem_id 0
		.amdhsa_next_free_vgpr 152
		.amdhsa_next_free_sgpr 20
		.amdhsa_accum_offset 152
		.amdhsa_reserve_vcc 1
		.amdhsa_reserve_flat_scratch 0
		.amdhsa_float_round_mode_32 0
		.amdhsa_float_round_mode_16_64 0
		.amdhsa_float_denorm_mode_32 3
		.amdhsa_float_denorm_mode_16_64 3
		.amdhsa_dx10_clamp 1
		.amdhsa_ieee_mode 1
		.amdhsa_fp16_overflow 0
		.amdhsa_tg_split 0
		.amdhsa_exception_fp_ieee_invalid_op 0
		.amdhsa_exception_fp_denorm_src 0
		.amdhsa_exception_fp_ieee_div_zero 0
		.amdhsa_exception_fp_ieee_overflow 0
		.amdhsa_exception_fp_ieee_underflow 0
		.amdhsa_exception_fp_ieee_inexact 0
		.amdhsa_exception_int_div_zero 0
	.end_amdhsa_kernel
	.text
.Lfunc_end0:
	.size	bluestein_single_back_len972_dim1_dp_op_CI_CI, .Lfunc_end0-bluestein_single_back_len972_dim1_dp_op_CI_CI
                                        ; -- End function
	.section	.AMDGPU.csdata,"",@progbits
; Kernel info:
; codeLenInByte = 6852
; NumSgprs: 24
; NumVgprs: 152
; NumAgprs: 0
; TotalNumVgprs: 152
; ScratchSize: 0
; MemoryBound: 0
; FloatMode: 240
; IeeeMode: 1
; LDSByteSize: 15552 bytes/workgroup (compile time only)
; SGPRBlocks: 2
; VGPRBlocks: 18
; NumSGPRsForWavesPerEU: 24
; NumVGPRsForWavesPerEU: 152
; AccumOffset: 152
; Occupancy: 3
; WaveLimiterHint : 1
; COMPUTE_PGM_RSRC2:SCRATCH_EN: 0
; COMPUTE_PGM_RSRC2:USER_SGPR: 6
; COMPUTE_PGM_RSRC2:TRAP_HANDLER: 0
; COMPUTE_PGM_RSRC2:TGID_X_EN: 1
; COMPUTE_PGM_RSRC2:TGID_Y_EN: 0
; COMPUTE_PGM_RSRC2:TGID_Z_EN: 0
; COMPUTE_PGM_RSRC2:TIDIG_COMP_CNT: 0
; COMPUTE_PGM_RSRC3_GFX90A:ACCUM_OFFSET: 37
; COMPUTE_PGM_RSRC3_GFX90A:TG_SPLIT: 0
	.text
	.p2alignl 6, 3212836864
	.fill 256, 4, 3212836864
	.type	__hip_cuid_81e06ba8a3709bcf,@object ; @__hip_cuid_81e06ba8a3709bcf
	.section	.bss,"aw",@nobits
	.globl	__hip_cuid_81e06ba8a3709bcf
__hip_cuid_81e06ba8a3709bcf:
	.byte	0                               ; 0x0
	.size	__hip_cuid_81e06ba8a3709bcf, 1

	.ident	"AMD clang version 19.0.0git (https://github.com/RadeonOpenCompute/llvm-project roc-6.4.0 25133 c7fe45cf4b819c5991fe208aaa96edf142730f1d)"
	.section	".note.GNU-stack","",@progbits
	.addrsig
	.addrsig_sym __hip_cuid_81e06ba8a3709bcf
	.amdgpu_metadata
---
amdhsa.kernels:
  - .agpr_count:     0
    .args:
      - .actual_access:  read_only
        .address_space:  global
        .offset:         0
        .size:           8
        .value_kind:     global_buffer
      - .actual_access:  read_only
        .address_space:  global
        .offset:         8
        .size:           8
        .value_kind:     global_buffer
      - .actual_access:  read_only
        .address_space:  global
        .offset:         16
        .size:           8
        .value_kind:     global_buffer
      - .actual_access:  read_only
        .address_space:  global
        .offset:         24
        .size:           8
        .value_kind:     global_buffer
      - .actual_access:  read_only
        .address_space:  global
        .offset:         32
        .size:           8
        .value_kind:     global_buffer
      - .offset:         40
        .size:           8
        .value_kind:     by_value
      - .address_space:  global
        .offset:         48
        .size:           8
        .value_kind:     global_buffer
      - .address_space:  global
        .offset:         56
        .size:           8
        .value_kind:     global_buffer
      - .address_space:  global
        .offset:         64
        .size:           8
        .value_kind:     global_buffer
      - .address_space:  global
        .offset:         72
        .size:           8
        .value_kind:     global_buffer
      - .offset:         80
        .size:           4
        .value_kind:     by_value
      - .address_space:  global
        .offset:         88
        .size:           8
        .value_kind:     global_buffer
      - .address_space:  global
        .offset:         96
        .size:           8
        .value_kind:     global_buffer
    .group_segment_fixed_size: 15552
    .kernarg_segment_align: 8
    .kernarg_segment_size: 104
    .language:       OpenCL C
    .language_version:
      - 2
      - 0
    .max_flat_workgroup_size: 162
    .name:           bluestein_single_back_len972_dim1_dp_op_CI_CI
    .private_segment_fixed_size: 0
    .sgpr_count:     24
    .sgpr_spill_count: 0
    .symbol:         bluestein_single_back_len972_dim1_dp_op_CI_CI.kd
    .uniform_work_group_size: 1
    .uses_dynamic_stack: false
    .vgpr_count:     152
    .vgpr_spill_count: 0
    .wavefront_size: 64
amdhsa.target:   amdgcn-amd-amdhsa--gfx90a
amdhsa.version:
  - 1
  - 2
...

	.end_amdgpu_metadata
